;; amdgpu-corpus repo=ROCm/rocFFT kind=compiled arch=gfx906 opt=O3
	.text
	.amdgcn_target "amdgcn-amd-amdhsa--gfx906"
	.amdhsa_code_object_version 6
	.protected	fft_rtc_fwd_len891_factors_9_11_3_3_wgs_198_tpt_99_halfLds_half_ip_CI_sbrr_dirReg ; -- Begin function fft_rtc_fwd_len891_factors_9_11_3_3_wgs_198_tpt_99_halfLds_half_ip_CI_sbrr_dirReg
	.globl	fft_rtc_fwd_len891_factors_9_11_3_3_wgs_198_tpt_99_halfLds_half_ip_CI_sbrr_dirReg
	.p2align	8
	.type	fft_rtc_fwd_len891_factors_9_11_3_3_wgs_198_tpt_99_halfLds_half_ip_CI_sbrr_dirReg,@function
fft_rtc_fwd_len891_factors_9_11_3_3_wgs_198_tpt_99_halfLds_half_ip_CI_sbrr_dirReg: ; @fft_rtc_fwd_len891_factors_9_11_3_3_wgs_198_tpt_99_halfLds_half_ip_CI_sbrr_dirReg
; %bb.0:
	s_load_dwordx2 s[14:15], s[4:5], 0x18
	s_load_dwordx4 s[8:11], s[4:5], 0x0
	s_load_dwordx2 s[12:13], s[4:5], 0x50
	v_mul_u32_u24_e32 v1, 0x296, v0
	v_lshrrev_b32_e32 v9, 16, v1
	s_waitcnt lgkmcnt(0)
	s_load_dwordx2 s[2:3], s[14:15], 0x0
	v_cmp_lt_u64_e64 s[0:1], s[10:11], 2
	v_mov_b32_e32 v3, 0
	v_mov_b32_e32 v1, 0
	v_lshl_add_u32 v5, s6, 1, v9
	v_mov_b32_e32 v6, v3
	s_and_b64 vcc, exec, s[0:1]
	v_mov_b32_e32 v2, 0
	s_cbranch_vccnz .LBB0_8
; %bb.1:
	s_load_dwordx2 s[0:1], s[4:5], 0x10
	s_add_u32 s6, s14, 8
	s_addc_u32 s7, s15, 0
	v_mov_b32_e32 v1, 0
	v_mov_b32_e32 v2, 0
	s_waitcnt lgkmcnt(0)
	s_add_u32 s16, s0, 8
	s_addc_u32 s17, s1, 0
	s_mov_b64 s[18:19], 1
.LBB0_2:                                ; =>This Inner Loop Header: Depth=1
	s_load_dwordx2 s[20:21], s[16:17], 0x0
                                        ; implicit-def: $vgpr7_vgpr8
	s_waitcnt lgkmcnt(0)
	v_or_b32_e32 v4, s21, v6
	v_cmp_ne_u64_e32 vcc, 0, v[3:4]
	s_and_saveexec_b64 s[0:1], vcc
	s_xor_b64 s[22:23], exec, s[0:1]
	s_cbranch_execz .LBB0_4
; %bb.3:                                ;   in Loop: Header=BB0_2 Depth=1
	v_cvt_f32_u32_e32 v4, s20
	v_cvt_f32_u32_e32 v7, s21
	s_sub_u32 s0, 0, s20
	s_subb_u32 s1, 0, s21
	v_mac_f32_e32 v4, 0x4f800000, v7
	v_rcp_f32_e32 v4, v4
	v_mul_f32_e32 v4, 0x5f7ffffc, v4
	v_mul_f32_e32 v7, 0x2f800000, v4
	v_trunc_f32_e32 v7, v7
	v_mac_f32_e32 v4, 0xcf800000, v7
	v_cvt_u32_f32_e32 v7, v7
	v_cvt_u32_f32_e32 v4, v4
	v_mul_lo_u32 v8, s0, v7
	v_mul_hi_u32 v10, s0, v4
	v_mul_lo_u32 v12, s1, v4
	v_mul_lo_u32 v11, s0, v4
	v_add_u32_e32 v8, v10, v8
	v_add_u32_e32 v8, v8, v12
	v_mul_hi_u32 v10, v4, v11
	v_mul_lo_u32 v12, v4, v8
	v_mul_hi_u32 v14, v4, v8
	v_mul_hi_u32 v13, v7, v11
	v_mul_lo_u32 v11, v7, v11
	v_mul_hi_u32 v15, v7, v8
	v_add_co_u32_e32 v10, vcc, v10, v12
	v_addc_co_u32_e32 v12, vcc, 0, v14, vcc
	v_mul_lo_u32 v8, v7, v8
	v_add_co_u32_e32 v10, vcc, v10, v11
	v_addc_co_u32_e32 v10, vcc, v12, v13, vcc
	v_addc_co_u32_e32 v11, vcc, 0, v15, vcc
	v_add_co_u32_e32 v8, vcc, v10, v8
	v_addc_co_u32_e32 v10, vcc, 0, v11, vcc
	v_add_co_u32_e32 v4, vcc, v4, v8
	v_addc_co_u32_e32 v7, vcc, v7, v10, vcc
	v_mul_lo_u32 v8, s0, v7
	v_mul_hi_u32 v10, s0, v4
	v_mul_lo_u32 v11, s1, v4
	v_mul_lo_u32 v12, s0, v4
	v_add_u32_e32 v8, v10, v8
	v_add_u32_e32 v8, v8, v11
	v_mul_lo_u32 v13, v4, v8
	v_mul_hi_u32 v14, v4, v12
	v_mul_hi_u32 v15, v4, v8
	v_mul_hi_u32 v11, v7, v12
	v_mul_lo_u32 v12, v7, v12
	v_mul_hi_u32 v10, v7, v8
	v_add_co_u32_e32 v13, vcc, v14, v13
	v_addc_co_u32_e32 v14, vcc, 0, v15, vcc
	v_mul_lo_u32 v8, v7, v8
	v_add_co_u32_e32 v12, vcc, v13, v12
	v_addc_co_u32_e32 v11, vcc, v14, v11, vcc
	v_addc_co_u32_e32 v10, vcc, 0, v10, vcc
	v_add_co_u32_e32 v8, vcc, v11, v8
	v_addc_co_u32_e32 v10, vcc, 0, v10, vcc
	v_add_co_u32_e32 v4, vcc, v4, v8
	v_addc_co_u32_e32 v10, vcc, v7, v10, vcc
	v_mad_u64_u32 v[7:8], s[0:1], v5, v10, 0
	v_mul_hi_u32 v11, v5, v4
	v_add_co_u32_e32 v12, vcc, v11, v7
	v_addc_co_u32_e32 v13, vcc, 0, v8, vcc
	v_mad_u64_u32 v[7:8], s[0:1], v6, v4, 0
	v_mad_u64_u32 v[10:11], s[0:1], v6, v10, 0
	v_add_co_u32_e32 v4, vcc, v12, v7
	v_addc_co_u32_e32 v4, vcc, v13, v8, vcc
	v_addc_co_u32_e32 v7, vcc, 0, v11, vcc
	v_add_co_u32_e32 v4, vcc, v4, v10
	v_addc_co_u32_e32 v10, vcc, 0, v7, vcc
	v_mul_lo_u32 v11, s21, v4
	v_mul_lo_u32 v12, s20, v10
	v_mad_u64_u32 v[7:8], s[0:1], s20, v4, 0
	v_add3_u32 v8, v8, v12, v11
	v_sub_u32_e32 v11, v6, v8
	v_mov_b32_e32 v12, s21
	v_sub_co_u32_e32 v7, vcc, v5, v7
	v_subb_co_u32_e64 v11, s[0:1], v11, v12, vcc
	v_subrev_co_u32_e64 v12, s[0:1], s20, v7
	v_subbrev_co_u32_e64 v11, s[0:1], 0, v11, s[0:1]
	v_cmp_le_u32_e64 s[0:1], s21, v11
	v_cndmask_b32_e64 v13, 0, -1, s[0:1]
	v_cmp_le_u32_e64 s[0:1], s20, v12
	v_cndmask_b32_e64 v12, 0, -1, s[0:1]
	v_cmp_eq_u32_e64 s[0:1], s21, v11
	v_cndmask_b32_e64 v11, v13, v12, s[0:1]
	v_add_co_u32_e64 v12, s[0:1], 2, v4
	v_addc_co_u32_e64 v13, s[0:1], 0, v10, s[0:1]
	v_add_co_u32_e64 v14, s[0:1], 1, v4
	v_addc_co_u32_e64 v15, s[0:1], 0, v10, s[0:1]
	v_subb_co_u32_e32 v8, vcc, v6, v8, vcc
	v_cmp_ne_u32_e64 s[0:1], 0, v11
	v_cmp_le_u32_e32 vcc, s21, v8
	v_cndmask_b32_e64 v11, v15, v13, s[0:1]
	v_cndmask_b32_e64 v13, 0, -1, vcc
	v_cmp_le_u32_e32 vcc, s20, v7
	v_cndmask_b32_e64 v7, 0, -1, vcc
	v_cmp_eq_u32_e32 vcc, s21, v8
	v_cndmask_b32_e32 v7, v13, v7, vcc
	v_cmp_ne_u32_e32 vcc, 0, v7
	v_cndmask_b32_e64 v7, v14, v12, s[0:1]
	v_cndmask_b32_e32 v8, v10, v11, vcc
	v_cndmask_b32_e32 v7, v4, v7, vcc
.LBB0_4:                                ;   in Loop: Header=BB0_2 Depth=1
	s_andn2_saveexec_b64 s[0:1], s[22:23]
	s_cbranch_execz .LBB0_6
; %bb.5:                                ;   in Loop: Header=BB0_2 Depth=1
	v_cvt_f32_u32_e32 v4, s20
	s_sub_i32 s22, 0, s20
	v_rcp_iflag_f32_e32 v4, v4
	v_mul_f32_e32 v4, 0x4f7ffffe, v4
	v_cvt_u32_f32_e32 v4, v4
	v_mul_lo_u32 v7, s22, v4
	v_mul_hi_u32 v7, v4, v7
	v_add_u32_e32 v4, v4, v7
	v_mul_hi_u32 v4, v5, v4
	v_mul_lo_u32 v7, v4, s20
	v_add_u32_e32 v8, 1, v4
	v_sub_u32_e32 v7, v5, v7
	v_subrev_u32_e32 v10, s20, v7
	v_cmp_le_u32_e32 vcc, s20, v7
	v_cndmask_b32_e32 v7, v7, v10, vcc
	v_cndmask_b32_e32 v4, v4, v8, vcc
	v_add_u32_e32 v8, 1, v4
	v_cmp_le_u32_e32 vcc, s20, v7
	v_cndmask_b32_e32 v7, v4, v8, vcc
	v_mov_b32_e32 v8, v3
.LBB0_6:                                ;   in Loop: Header=BB0_2 Depth=1
	s_or_b64 exec, exec, s[0:1]
	v_mul_lo_u32 v4, v8, s20
	v_mul_lo_u32 v12, v7, s21
	v_mad_u64_u32 v[10:11], s[0:1], v7, s20, 0
	s_load_dwordx2 s[0:1], s[6:7], 0x0
	s_add_u32 s18, s18, 1
	v_add3_u32 v4, v11, v12, v4
	v_sub_co_u32_e32 v5, vcc, v5, v10
	v_subb_co_u32_e32 v4, vcc, v6, v4, vcc
	s_waitcnt lgkmcnt(0)
	v_mul_lo_u32 v4, s0, v4
	v_mul_lo_u32 v6, s1, v5
	v_mad_u64_u32 v[1:2], s[0:1], s0, v5, v[1:2]
	s_addc_u32 s19, s19, 0
	s_add_u32 s6, s6, 8
	v_add3_u32 v2, v6, v2, v4
	v_mov_b32_e32 v4, s10
	v_mov_b32_e32 v5, s11
	s_addc_u32 s7, s7, 0
	v_cmp_ge_u64_e32 vcc, s[18:19], v[4:5]
	s_add_u32 s16, s16, 8
	s_addc_u32 s17, s17, 0
	s_cbranch_vccnz .LBB0_9
; %bb.7:                                ;   in Loop: Header=BB0_2 Depth=1
	v_mov_b32_e32 v5, v7
	v_mov_b32_e32 v6, v8
	s_branch .LBB0_2
.LBB0_8:
	v_mov_b32_e32 v8, v6
	v_mov_b32_e32 v7, v5
.LBB0_9:
	s_lshl_b64 s[0:1], s[10:11], 3
	s_add_u32 s0, s14, s0
	s_addc_u32 s1, s15, s1
	s_load_dwordx2 s[6:7], s[0:1], 0x0
	s_load_dwordx2 s[10:11], s[4:5], 0x20
	v_mov_b32_e32 v18, 0
	v_mov_b32_e32 v24, 0
	;; [unrolled: 1-line block ×3, first 2 shown]
	s_waitcnt lgkmcnt(0)
	v_mad_u64_u32 v[1:2], s[0:1], s6, v7, v[1:2]
	s_mov_b32 s0, 0x295fad5
	v_mul_lo_u32 v3, s6, v8
	v_mul_lo_u32 v4, s7, v7
	v_mul_hi_u32 v5, v0, s0
	v_cmp_gt_u64_e32 vcc, s[10:11], v[7:8]
	v_mov_b32_e32 v10, 0
	v_add3_u32 v2, v4, v2, v3
	v_mul_u32_u24_e32 v3, 0x63, v5
	v_sub_u32_e32 v6, v0, v3
	v_lshlrev_b64 v[0:1], 2, v[1:2]
                                        ; implicit-def: $vgpr4
                                        ; implicit-def: $vgpr2
                                        ; implicit-def: $vgpr5
                                        ; implicit-def: $vgpr15
                                        ; implicit-def: $vgpr26
                                        ; implicit-def: $vgpr16
                                        ; implicit-def: $vgpr27
                                        ; implicit-def: $vgpr21
                                        ; implicit-def: $vgpr28
                                        ; implicit-def: $vgpr23
	s_and_saveexec_b64 s[4:5], vcc
	s_cbranch_execz .LBB0_11
; %bb.10:
	v_mad_u64_u32 v[2:3], s[0:1], s2, v6, 0
	v_add_u32_e32 v8, 0x63, v6
	v_mov_b32_e32 v7, s13
	v_mad_u64_u32 v[3:4], s[0:1], s3, v6, v[3:4]
	v_mad_u64_u32 v[4:5], s[0:1], s2, v8, 0
	v_add_co_u32_e64 v14, s[0:1], s12, v0
	v_addc_co_u32_e64 v15, s[0:1], v7, v1, s[0:1]
	v_mad_u64_u32 v[7:8], s[0:1], s3, v8, v[5:6]
	v_add_u32_e32 v8, 0xc6, v6
	v_mad_u64_u32 v[10:11], s[0:1], s2, v8, 0
	v_lshlrev_b64 v[2:3], 2, v[2:3]
	v_mov_b32_e32 v5, v7
	v_add_co_u32_e64 v12, s[0:1], v14, v2
	v_addc_co_u32_e64 v13, s[0:1], v15, v3, s[0:1]
	v_lshlrev_b64 v[2:3], 2, v[4:5]
	v_mov_b32_e32 v4, v11
	v_mad_u64_u32 v[4:5], s[0:1], s3, v8, v[4:5]
	v_add_u32_e32 v5, 0x129, v6
	v_mad_u64_u32 v[7:8], s[0:1], s2, v5, 0
	v_add_co_u32_e64 v19, s[0:1], v14, v2
	v_mov_b32_e32 v11, v4
	v_mov_b32_e32 v4, v8
	v_addc_co_u32_e64 v20, s[0:1], v15, v3, s[0:1]
	v_mad_u64_u32 v[4:5], s[0:1], s3, v5, v[4:5]
	v_add_u32_e32 v5, 0x18c, v6
	v_lshlrev_b64 v[2:3], 2, v[10:11]
	v_mad_u64_u32 v[10:11], s[0:1], s2, v5, 0
	v_add_co_u32_e64 v26, s[0:1], v14, v2
	v_mov_b32_e32 v8, v4
	v_mov_b32_e32 v4, v11
	v_addc_co_u32_e64 v27, s[0:1], v15, v3, s[0:1]
	v_mad_u64_u32 v[4:5], s[0:1], s3, v5, v[4:5]
	v_add_u32_e32 v5, 0x1ef, v6
	v_lshlrev_b64 v[2:3], 2, v[7:8]
	;; [unrolled: 8-line block ×5, first 2 shown]
	v_mad_u64_u32 v[10:11], s[0:1], s2, v5, 0
	v_add_co_u32_e64 v34, s[0:1], v14, v2
	v_mov_b32_e32 v8, v4
	v_mov_b32_e32 v4, v11
	v_addc_co_u32_e64 v35, s[0:1], v15, v3, s[0:1]
	v_mad_u64_u32 v[4:5], s[0:1], s3, v5, v[4:5]
	v_lshlrev_b64 v[2:3], 2, v[7:8]
	v_add_co_u32_e64 v7, s[0:1], v14, v2
	v_mov_b32_e32 v11, v4
	v_addc_co_u32_e64 v8, s[0:1], v15, v3, s[0:1]
	v_lshlrev_b64 v[2:3], 2, v[10:11]
	v_add_co_u32_e64 v4, s[0:1], v14, v2
	v_addc_co_u32_e64 v5, s[0:1], v15, v3, s[0:1]
	global_load_dword v15, v[32:33], off
	global_load_dword v16, v[34:35], off
	global_load_dword v21, v[7:8], off
	global_load_dword v2, v[12:13], off
	global_load_dword v23, v[4:5], off
	global_load_dword v18, v[19:20], off
	global_load_dword v24, v[26:27], off
	global_load_dword v25, v[28:29], off
	global_load_dword v10, v[30:31], off
	s_waitcnt vmcnt(8)
	v_lshrrev_b32_e32 v5, 16, v15
	s_waitcnt vmcnt(7)
	v_lshrrev_b32_e32 v26, 16, v16
	s_waitcnt vmcnt(6)
	v_lshrrev_b32_e32 v27, 16, v21
	s_waitcnt vmcnt(5)
	v_lshrrev_b32_e32 v4, 16, v2
	s_waitcnt vmcnt(4)
	v_lshrrev_b32_e32 v28, 16, v23
.LBB0_11:
	s_or_b64 exec, exec, s[4:5]
	s_waitcnt vmcnt(3)
	v_add_f16_e32 v7, v23, v18
	s_waitcnt vmcnt(2)
	v_add_f16_e32 v8, v21, v24
	;; [unrolled: 2-line block ×4, first 2 shown]
	v_add_f16_e32 v17, v7, v8
	v_sub_f16_sdwa v12, v24, v27 dst_sel:DWORD dst_unused:UNUSED_PAD src0_sel:WORD_1 src1_sel:DWORD
	v_add_f16_e32 v14, v2, v11
	v_add_f16_e32 v19, v17, v13
	v_sub_f16_sdwa v3, v18, v28 dst_sel:DWORD dst_unused:UNUSED_PAD src0_sel:WORD_1 src1_sel:DWORD
	v_fma_f16 v14, v19, -0.5, v14
	v_mul_f16_e32 v19, 0x3be1, v12
	s_movk_i32 s18, 0x3924
	v_sub_f16_sdwa v22, v10, v5 dst_sel:DWORD dst_unused:UNUSED_PAD src0_sel:WORD_1 src1_sel:DWORD
	s_movk_i32 s6, 0x3be1
	v_fma_f16 v19, v3, s18, v19
	s_movk_i32 s7, 0x3aee
	v_sub_f16_sdwa v20, v25, v26 dst_sel:DWORD dst_unused:UNUSED_PAD src0_sel:WORD_1 src1_sel:DWORD
	v_mul_f16_e32 v29, 0xb924, v22
	v_fma_f16 v19, v20, s7, v19
	s_movk_i32 s10, 0x3579
	v_fma_f16 v29, v3, s6, v29
	s_mov_b32 s14, 0xbaee
	v_fma_f16 v19, v22, s10, v19
	s_mov_b32 s11, 0xb924
	v_fma_f16 v29, v20, s14, v29
	v_add_f16_e32 v30, v3, v22
	v_mul_f16_e32 v22, 0x3be1, v22
	v_fma_f16 v29, v12, s10, v29
	v_sub_f16_e32 v30, v30, v12
	v_fma_f16 v12, v12, s11, -v22
	v_fma_f16 v12, v20, s7, v12
	s_movk_i32 s15, 0x3a21
	v_fma_f16 v20, v3, s10, v12
	s_movk_i32 s16, 0x318f
	v_fma_f16 v3, v7, s15, v2
	v_fma_f16 v12, v8, s16, v3
	;; [unrolled: 1-line block ×4, first 2 shown]
	s_mov_b32 s17, 0xbb84
	v_fma_f16 v3, v11, -0.5, v3
	v_fma_f16 v22, v8, s17, v3
	v_add_f16_e32 v3, v17, v11
	v_add_f16_e32 v3, v3, v10
	;; [unrolled: 1-line block ×4, first 2 shown]
	v_fma_f16 v2, v8, s15, v2
	v_fma_f16 v2, v13, s16, v2
	v_fma_f16 v2, v11, -0.5, v2
	v_and_b32_e32 v9, 1, v9
	v_fma_f16 v8, v11, -0.5, v12
	v_mov_b32_e32 v11, 0x37b
	v_cmp_eq_u32_e64 s[0:1], 1, v9
	v_fma_f16 v2, v7, s17, v2
	v_fma_f16 v8, v13, s17, v8
	v_cndmask_b32_e64 v36, 0, v11, s[0:1]
	v_add_f16_e32 v11, v29, v22
	v_fma_f16 v12, v30, s7, v14
	v_mul_f16_e32 v13, 0x3aee, v30
	v_add_f16_e32 v14, v2, v20
	v_add_f16_e32 v9, v8, v19
	v_fma_f16 v8, v29, -2.0, v11
	v_fma_f16 v13, v13, -2.0, v12
	;; [unrolled: 1-line block ×3, first 2 shown]
	v_mad_u32_u24 v29, v6, 18, 0
	s_movk_i32 s0, 0x51
	v_pack_b32_f16 v33, v11, v12
	v_pack_b32_f16 v35, v13, v8
	;; [unrolled: 1-line block ×4, first 2 shown]
	v_lshl_add_u32 v31, v36, 1, v29
	v_fma_f16 v19, v19, -2.0, v9
	v_cmp_gt_u32_e64 s[0:1], s0, v6
	v_lshlrev_b32_e32 v7, 1, v36
	v_lshlrev_b32_e32 v30, 4, v6
	;; [unrolled: 1-line block ×3, first 2 shown]
	ds_write_b128 v31, v[32:35]
	ds_write_b16 v31, v19 offset:16
	s_waitcnt lgkmcnt(0)
	s_barrier
	s_waitcnt lgkmcnt(0)
                                        ; implicit-def: $vgpr20
                                        ; implicit-def: $vgpr22
	s_and_saveexec_b64 s[4:5], s[0:1]
	s_cbranch_execz .LBB0_13
; %bb.12:
	v_sub_u32_e32 v8, v29, v30
	v_add3_u32 v3, 0, v7, v2
	v_add_u32_e32 v20, v8, v7
	ds_read_u16 v3, v3
	ds_read_u16 v9, v20 offset:162
	ds_read_u16 v11, v20 offset:324
	;; [unrolled: 1-line block ×10, first 2 shown]
.LBB0_13:
	s_or_b64 exec, exec, s[4:5]
	v_add_f16_sdwa v28, v28, v18 dst_sel:DWORD dst_unused:UNUSED_PAD src0_sel:DWORD src1_sel:WORD_1
	v_sub_f16_e32 v21, v24, v21
	v_add_f16_sdwa v27, v27, v24 dst_sel:DWORD dst_unused:UNUSED_PAD src0_sel:DWORD src1_sel:WORD_1
	v_sub_f16_e32 v32, v18, v23
	v_sub_f16_e32 v33, v25, v16
	v_mul_f16_e32 v16, 0x3be1, v21
	v_sub_f16_e32 v34, v10, v15
	v_fma_f16 v15, v28, s15, v4
	v_add_f16_sdwa v26, v26, v25 dst_sel:DWORD dst_unused:UNUSED_PAD src0_sel:DWORD src1_sel:WORD_1
	v_fma_f16 v16, v32, s18, v16
	v_fma_f16 v15, v27, s16, v15
	;; [unrolled: 1-line block ×3, first 2 shown]
	v_fma_f16 v15, v26, -0.5, v15
	v_add_f16_sdwa v35, v5, v10 dst_sel:DWORD dst_unused:UNUSED_PAD src0_sel:DWORD src1_sel:WORD_1
	v_fma_f16 v16, v34, s10, v16
	v_fma_f16 v15, v35, s17, v15
	v_sub_f16_e32 v15, v15, v16
	v_fma_f16 v25, v16, 2.0, v15
	v_mul_f16_e32 v16, 0xb924, v34
	v_fma_f16 v16, v32, s6, v16
	v_fma_f16 v16, v33, s14, v16
	v_add_f16_e32 v23, v32, v34
	v_mul_f16_e32 v34, 0x3be1, v34
	v_fma_f16 v18, v21, s10, v16
	v_sub_f16_e32 v23, v23, v21
	v_fma_f16 v21, v21, s11, -v34
	v_add_f16_e32 v37, v28, v27
	v_fma_f16 v21, v33, s7, v21
	v_fma_f16 v21, v32, s10, v21
	v_add_f16_e32 v32, v37, v26
	v_add_f16_sdwa v10, v32, v10 dst_sel:DWORD dst_unused:UNUSED_PAD src0_sel:DWORD src1_sel:WORD_1
	v_add_f16_e32 v5, v5, v10
	v_fma_f16 v16, v35, s15, v4
	v_add_f16_e32 v36, v4, v26
	v_add_f16_e32 v10, v4, v5
	v_fma_f16 v4, v27, s15, v4
	v_fma_f16 v16, v28, s16, v16
	;; [unrolled: 1-line block ×3, first 2 shown]
	v_fma_f16 v16, v26, -0.5, v16
	v_add_f16_e32 v38, v37, v35
	v_fma_f16 v4, v26, -0.5, v4
	v_fma_f16 v16, v27, s17, v16
	v_fma_f16 v36, v38, -0.5, v36
	v_fma_f16 v4, v28, s17, v4
	v_sub_f16_e32 v16, v16, v18
	v_mul_f16_e32 v24, 0x3aee, v23
	v_fma_f16 v23, v23, s14, v36
	v_sub_f16_e32 v27, v4, v21
	v_fma_f16 v18, v18, 2.0, v16
	v_fma_f16 v24, v24, 2.0, v23
	;; [unrolled: 1-line block ×3, first 2 shown]
	v_pack_b32_f16 v33, v16, v23
	v_pack_b32_f16 v35, v24, v18
	;; [unrolled: 1-line block ×4, first 2 shown]
	s_waitcnt lgkmcnt(0)
	s_barrier
	ds_write_b128 v31, v[32:35]
	ds_write_b16 v31, v25 offset:16
	s_waitcnt lgkmcnt(0)
	s_barrier
	s_waitcnt lgkmcnt(0)
                                        ; implicit-def: $vgpr31
                                        ; implicit-def: $vgpr32
	s_and_saveexec_b64 s[4:5], s[0:1]
	s_cbranch_execz .LBB0_15
; %bb.14:
	v_add3_u32 v4, 0, v7, v2
	v_sub_u32_e32 v5, v29, v30
	v_add_u32_e32 v5, v5, v7
	ds_read_u16 v10, v4
	ds_read_u16 v15, v5 offset:162
	ds_read_u16 v16, v5 offset:324
	;; [unrolled: 1-line block ×10, first 2 shown]
.LBB0_15:
	s_or_b64 exec, exec, s[4:5]
	v_mov_b32_e32 v4, 57
	v_mul_lo_u16_sdwa v4, v6, v4 dst_sel:DWORD dst_unused:UNUSED_PAD src0_sel:BYTE_0 src1_sel:DWORD
	v_lshrrev_b16_e32 v4, 9, v4
	v_mul_lo_u16_e32 v5, 9, v4
	v_sub_u16_e32 v5, v6, v5
	v_mov_b32_e32 v21, 10
	v_mul_u32_u24_sdwa v21, v5, v21 dst_sel:DWORD dst_unused:UNUSED_PAD src0_sel:BYTE_0 src1_sel:DWORD
	v_lshlrev_b32_e32 v21, 2, v21
	global_load_dwordx4 v[37:40], v21, s[8:9]
	global_load_dwordx4 v[41:44], v21, s[8:9] offset:16
	global_load_dwordx2 v[33:34], v21, s[8:9] offset:32
	s_waitcnt vmcnt(0) lgkmcnt(0)
	s_barrier
	v_mul_f16_sdwa v21, v15, v37 dst_sel:DWORD dst_unused:UNUSED_PAD src0_sel:DWORD src1_sel:WORD_1
	v_mul_f16_sdwa v28, v9, v37 dst_sel:DWORD dst_unused:UNUSED_PAD src0_sel:DWORD src1_sel:WORD_1
	;; [unrolled: 1-line block ×20, first 2 shown]
	v_fma_f16 v36, v9, v37, -v21
	v_fma_f16 v37, v15, v37, v28
	v_fma_f16 v28, v11, v38, -v29
	v_fma_f16 v29, v16, v38, v30
	;; [unrolled: 2-line block ×10, first 2 shown]
	s_and_saveexec_b64 s[4:5], s[0:1]
	s_cbranch_execz .LBB0_17
; %bb.16:
	v_sub_f16_e32 v9, v37, v39
	v_add_f16_e32 v8, v36, v38
	v_mul_f16_e32 v19, 0xb482, v9
	s_mov_b32 s6, 0xbbad
	v_sub_f16_e32 v26, v29, v33
	v_fma_f16 v20, v8, s6, v19
	v_add_f16_e32 v22, v28, v30
	v_mul_f16_e32 v27, 0x3853, v26
	s_movk_i32 s7, 0x3abb
	v_add_f16_e32 v20, v3, v20
	v_fma_f16 v31, v22, s7, v27
	v_sub_f16_e32 v32, v23, v25
	v_add_f16_e32 v20, v31, v20
	v_add_f16_e32 v31, v21, v24
	v_mul_f16_e32 v34, 0xba0c, v32
	s_mov_b32 s10, 0xb93d
	v_fma_f16 v35, v31, s10, v34
	v_sub_f16_e32 v40, v16, v18
	v_fma_f16 v19, v8, s6, -v19
	v_add_f16_e32 v20, v35, v20
	v_add_f16_e32 v35, v15, v17
	v_mul_f16_e32 v41, 0x3b47, v40
	s_movk_i32 s11, 0x36a6
	v_add_f16_e32 v19, v3, v19
	v_fma_f16 v27, v22, s7, -v27
	v_fma_f16 v42, v35, s11, v41
	v_sub_f16_e32 v43, v12, v14
	v_add_f16_e32 v19, v27, v19
	v_fma_f16 v27, v31, s10, -v34
	v_add_f16_e32 v20, v42, v20
	s_mov_b32 s14, 0xb08e
	v_add_f16_e32 v42, v11, v13
	v_mul_f16_e32 v44, 0xbbeb, v43
	v_add_f16_e32 v19, v27, v19
	v_fma_f16 v27, v35, s11, -v41
	v_add_f16_e32 v19, v27, v19
	v_fma_f16 v27, v42, s14, -v44
	v_add_f16_e32 v19, v27, v19
	v_mul_f16_e32 v27, 0xba0c, v9
	v_fma_f16 v34, v8, s10, v27
	v_mul_f16_e32 v41, 0x3beb, v26
	v_fma_f16 v45, v42, s14, v44
	v_add_f16_e32 v34, v3, v34
	v_fma_f16 v44, v22, s14, v41
	v_add_f16_e32 v34, v44, v34
	v_mul_f16_e32 v44, 0xb853, v32
	v_add_f16_e32 v20, v45, v20
	v_fma_f16 v45, v31, s7, v44
	v_fma_f16 v27, v8, s10, -v27
	v_add_f16_e32 v34, v45, v34
	v_mul_f16_e32 v45, 0xb482, v40
	v_add_f16_e32 v27, v3, v27
	v_fma_f16 v41, v22, s14, -v41
	v_fma_f16 v46, v35, s6, v45
	v_add_f16_e32 v27, v41, v27
	v_fma_f16 v41, v31, s7, -v44
	v_add_f16_e32 v34, v46, v34
	v_mul_f16_e32 v46, 0x3b47, v43
	v_add_f16_e32 v27, v41, v27
	v_fma_f16 v41, v35, s6, -v45
	v_add_f16_e32 v27, v41, v27
	v_fma_f16 v41, v42, s11, -v46
	v_add_f16_e32 v27, v41, v27
	v_mul_f16_e32 v41, 0xbbeb, v9
	v_fma_f16 v44, v8, s14, v41
	v_mul_f16_e32 v45, 0x3482, v26
	v_fma_f16 v47, v42, s11, v46
	v_add_f16_e32 v44, v3, v44
	v_fma_f16 v46, v22, s6, v45
	v_add_f16_e32 v44, v46, v44
	v_mul_f16_e32 v46, 0x3b47, v32
	v_add_f16_e32 v34, v47, v34
	v_fma_f16 v47, v31, s11, v46
	v_fma_f16 v41, v8, s14, -v41
	v_add_f16_e32 v44, v47, v44
	v_mul_f16_e32 v47, 0xb853, v40
	v_add_f16_e32 v41, v3, v41
	v_fma_f16 v45, v22, s6, -v45
	v_fma_f16 v48, v35, s7, v47
	v_add_f16_e32 v41, v45, v41
	v_fma_f16 v45, v31, s11, -v46
	v_add_f16_e32 v44, v48, v44
	v_mul_f16_e32 v48, 0xba0c, v43
	v_add_f16_e32 v41, v45, v41
	v_fma_f16 v45, v35, s7, -v47
	v_add_f16_e32 v41, v45, v41
	v_fma_f16 v45, v42, s10, -v48
	v_add_f16_e32 v41, v45, v41
	v_mul_f16_e32 v45, 0xbb47, v9
	v_fma_f16 v46, v8, s11, v45
	v_mul_f16_e32 v47, 0xba0c, v26
	v_fma_f16 v49, v42, s10, v48
	v_add_f16_e32 v46, v3, v46
	v_fma_f16 v48, v22, s10, v47
	v_add_f16_e32 v46, v48, v46
	v_mul_f16_e32 v48, 0x3482, v32
	v_add_f16_e32 v44, v49, v44
	v_fma_f16 v49, v31, s6, v48
	v_fma_f16 v45, v8, s11, -v45
	v_add_f16_e32 v46, v49, v46
	v_mul_f16_e32 v49, 0x3beb, v40
	v_add_f16_e32 v45, v3, v45
	v_fma_f16 v47, v22, s10, -v47
	v_fma_f16 v50, v35, s14, v49
	v_add_f16_e32 v45, v47, v45
	v_fma_f16 v47, v31, s6, -v48
	v_add_f16_e32 v46, v50, v46
	v_mul_f16_e32 v50, 0x3853, v43
	v_add_f16_e32 v45, v47, v45
	v_fma_f16 v47, v35, s14, -v49
	v_add_f16_e32 v45, v47, v45
	v_fma_f16 v47, v42, s7, -v50
	v_mul_f16_e32 v9, 0xb853, v9
	v_add_f16_e32 v45, v47, v45
	v_fma_f16 v47, v8, s7, v9
	v_fma_f16 v8, v8, s7, -v9
	v_add_f16_e32 v47, v3, v47
	v_add_f16_e32 v8, v3, v8
	;; [unrolled: 1-line block ×5, first 2 shown]
	v_mul_f16_e32 v26, 0xbb47, v26
	v_add_f16_e32 v3, v3, v15
	v_fma_f16 v48, v22, s11, v26
	v_mul_f16_e32 v32, 0xbbeb, v32
	v_fma_f16 v9, v22, s11, -v26
	v_add_f16_e32 v3, v3, v11
	v_add_f16_e32 v47, v48, v47
	v_fma_f16 v48, v31, s14, v32
	v_mul_f16_e32 v40, 0xba0c, v40
	v_add_f16_e32 v8, v9, v8
	v_fma_f16 v9, v31, s14, -v32
	v_add_f16_e32 v3, v3, v13
	v_add_f16_e32 v47, v48, v47
	v_fma_f16 v48, v35, s10, v40
	v_mul_f16_e32 v43, 0xb482, v43
	v_add_f16_e32 v8, v9, v8
	v_fma_f16 v9, v35, s10, -v40
	v_add_f16_e32 v3, v3, v17
	v_add_f16_e32 v47, v48, v47
	v_fma_f16 v48, v42, s6, v43
	v_add_f16_e32 v3, v3, v24
	v_add_f16_e32 v8, v9, v8
	v_fma_f16 v9, v42, s6, -v43
	s_movk_i32 s6, 0xc6
	v_mov_b32_e32 v22, 1
	v_add_f16_e32 v3, v3, v30
	v_add_f16_e32 v8, v9, v8
	v_mad_u32_u24 v9, v4, s6, 0
	v_lshlrev_b32_sdwa v22, v22, v5 dst_sel:DWORD dst_unused:UNUSED_PAD src0_sel:DWORD src1_sel:BYTE_0
	v_fma_f16 v51, v42, s7, v50
	v_add_f16_e32 v3, v3, v38
	v_add3_u32 v9, v9, v22, v7
	v_add_f16_e32 v46, v51, v46
	v_add_f16_e32 v47, v48, v47
	ds_write_b16 v9, v3
	ds_write_b16 v9, v8 offset:18
	ds_write_b16 v9, v45 offset:36
	;; [unrolled: 1-line block ×10, first 2 shown]
.LBB0_17:
	s_or_b64 exec, exec, s[4:5]
	v_add3_u32 v8, 0, v7, v2
	s_waitcnt lgkmcnt(0)
	s_barrier
	v_add3_u32 v9, 0, v2, v7
	ds_read_u16 v22, v8
	ds_read_u16 v20, v9 offset:198
	ds_read_u16 v32, v9 offset:792
	;; [unrolled: 1-line block ×8, first 2 shown]
	s_waitcnt lgkmcnt(0)
	s_barrier
	s_and_saveexec_b64 s[4:5], s[0:1]
	s_cbranch_execz .LBB0_19
; %bb.18:
	v_add_f16_e32 v3, v10, v37
	v_add_f16_e32 v3, v3, v29
	;; [unrolled: 1-line block ×8, first 2 shown]
	v_sub_f16_e32 v36, v36, v38
	v_add_f16_e32 v3, v3, v33
	v_add_f16_e32 v37, v37, v39
	v_mul_f16_e32 v38, 0xb853, v36
	s_movk_i32 s0, 0x3abb
	v_mul_f16_e32 v40, 0xbb47, v36
	s_movk_i32 s1, 0x36a6
	v_mul_f16_e32 v42, 0xbbeb, v36
	s_mov_b32 s6, 0xb08e
	v_mul_f16_e32 v44, 0xba0c, v36
	s_mov_b32 s7, 0xb93d
	;; [unrolled: 2-line block ×3, first 2 shown]
	v_sub_f16_e32 v28, v28, v30
	v_add_f16_e32 v3, v3, v39
	v_fma_f16 v39, v37, s0, v38
	v_fma_f16 v38, v37, s0, -v38
	v_fma_f16 v41, v37, s1, v40
	v_fma_f16 v40, v37, s1, -v40
	;; [unrolled: 2-line block ×5, first 2 shown]
	v_add_f16_e32 v29, v29, v33
	v_mul_f16_e32 v30, 0xbb47, v28
	v_add_f16_e32 v39, v10, v39
	v_add_f16_e32 v38, v10, v38
	;; [unrolled: 1-line block ×10, first 2 shown]
	v_fma_f16 v33, v29, s1, v30
	v_fma_f16 v30, v29, s1, -v30
	v_mul_f16_e32 v36, 0xba0c, v28
	v_add_f16_e32 v30, v30, v38
	v_fma_f16 v37, v29, s7, v36
	v_fma_f16 v36, v29, s7, -v36
	v_mul_f16_e32 v38, 0x3482, v28
	v_add_f16_e32 v33, v33, v39
	v_add_f16_e32 v36, v36, v40
	v_fma_f16 v39, v29, s10, v38
	v_fma_f16 v38, v29, s10, -v38
	v_mul_f16_e32 v40, 0x3beb, v28
	v_mul_f16_e32 v28, 0x3853, v28
	v_sub_f16_e32 v21, v21, v24
	v_add_f16_e32 v38, v38, v42
	v_fma_f16 v42, v29, s0, v28
	v_fma_f16 v28, v29, s0, -v28
	v_add_f16_e32 v23, v23, v25
	v_mul_f16_e32 v24, 0xbbeb, v21
	v_add_f16_e32 v10, v28, v10
	v_fma_f16 v25, v23, s6, v24
	v_fma_f16 v24, v23, s6, -v24
	v_mul_f16_e32 v28, 0x3482, v21
	v_add_f16_e32 v37, v37, v41
	v_fma_f16 v41, v29, s6, v40
	v_fma_f16 v40, v29, s6, -v40
	v_add_f16_e32 v24, v24, v30
	v_fma_f16 v29, v23, s10, v28
	v_fma_f16 v28, v23, s10, -v28
	v_mul_f16_e32 v30, 0x3b47, v21
	v_add_f16_e32 v25, v25, v33
	v_add_f16_e32 v28, v28, v36
	v_fma_f16 v33, v23, s1, v30
	v_fma_f16 v30, v23, s1, -v30
	v_mul_f16_e32 v36, 0xb853, v21
	v_mul_f16_e32 v21, 0xba0c, v21
	v_sub_f16_e32 v15, v15, v17
	v_add_f16_e32 v30, v30, v38
	v_fma_f16 v38, v23, s7, v21
	v_fma_f16 v21, v23, s7, -v21
	v_add_f16_e32 v16, v16, v18
	v_mul_f16_e32 v17, 0xba0c, v15
	v_add_f16_e32 v10, v21, v10
	v_fma_f16 v18, v16, s7, v17
	v_fma_f16 v17, v16, s7, -v17
	v_mul_f16_e32 v21, 0x3beb, v15
	v_add_f16_e32 v29, v29, v37
	v_fma_f16 v37, v23, s0, v36
	v_fma_f16 v36, v23, s0, -v36
	;; [unrolled: 23-line block ×3, first 2 shown]
	v_add_f16_e32 v13, v13, v17
	v_fma_f16 v16, v12, s0, v15
	v_fma_f16 v15, v12, s0, -v15
	v_mul_f16_e32 v17, 0xba0c, v11
	v_add_f16_e32 v14, v14, v18
	v_add_f16_e32 v15, v15, v21
	v_fma_f16 v18, v12, s7, v17
	v_fma_f16 v17, v12, s7, -v17
	v_mul_f16_e32 v21, 0x3b47, v11
	v_mul_f16_e32 v11, 0xbbeb, v11
	v_add_f16_e32 v17, v17, v24
	v_fma_f16 v24, v12, s6, v11
	v_fma_f16 v11, v12, s6, -v11
	v_add_f16_e32 v39, v39, v43
	v_add_f16_e32 v41, v41, v45
	;; [unrolled: 1-line block ×5, first 2 shown]
	s_movk_i32 s0, 0xc6
	v_mov_b32_e32 v11, 1
	v_add_f16_e32 v33, v33, v39
	v_add_f16_e32 v37, v37, v41
	v_add_f16_e32 v36, v36, v40
	v_add_f16_e32 v38, v38, v42
	v_mad_u32_u24 v4, v4, s0, 0
	v_lshlrev_b32_sdwa v5, v11, v5 dst_sel:DWORD dst_unused:UNUSED_PAD src0_sel:DWORD src1_sel:BYTE_0
	v_add_f16_e32 v25, v25, v33
	v_add_f16_e32 v29, v29, v37
	v_add_f16_e32 v28, v28, v36
	v_add_f16_e32 v30, v30, v38
	v_add_f16_e32 v16, v16, v23
	v_fma_f16 v23, v12, s1, v21
	v_fma_f16 v21, v12, s1, -v21
	v_add3_u32 v4, v4, v5, v7
	v_add_f16_e32 v18, v18, v25
	v_add_f16_e32 v23, v23, v29
	;; [unrolled: 1-line block ×4, first 2 shown]
	ds_write_b16 v4, v3
	ds_write_b16 v4, v14 offset:18
	ds_write_b16 v4, v16 offset:36
	ds_write_b16 v4, v18 offset:54
	ds_write_b16 v4, v23 offset:72
	ds_write_b16 v4, v24 offset:90
	ds_write_b16 v4, v10 offset:108
	ds_write_b16 v4, v21 offset:126
	ds_write_b16 v4, v17 offset:144
	ds_write_b16 v4, v15 offset:162
	ds_write_b16 v4, v13 offset:180
.LBB0_19:
	s_or_b64 exec, exec, s[4:5]
	v_mov_b32_e32 v3, 0
	v_lshlrev_b64 v[4:5], 2, v[2:3]
	v_mov_b32_e32 v2, s9
	v_add_co_u32_e64 v4, s[0:1], s8, v4
	v_addc_co_u32_e64 v5, s[0:1], v2, v5, s[0:1]
	v_add_u32_e32 v10, 0xc6, v6
	s_mov_b32 s0, 0xa57f
	v_mul_u32_u24_sdwa v2, v10, s0 dst_sel:DWORD dst_unused:UNUSED_PAD src0_sel:WORD_0 src1_sel:DWORD
	v_lshrrev_b32_e32 v2, 22, v2
	v_mul_lo_u16_e32 v2, 0x63, v2
	v_sub_u16_e32 v2, v10, v2
	s_waitcnt lgkmcnt(0)
	s_barrier
	global_load_dwordx2 v[11:12], v[4:5], off offset:360
	v_lshlrev_b32_e32 v13, 3, v2
	global_load_dwordx2 v[13:14], v13, s[8:9] offset:360
	ds_read_u16 v15, v8
	ds_read_u16 v16, v9 offset:198
	ds_read_u16 v17, v9 offset:792
	;; [unrolled: 1-line block ×8, first 2 shown]
	s_movk_i32 s0, 0x3aee
	s_mov_b32 s1, 0xbaee
	v_lshlrev_b32_e32 v2, 1, v2
	v_add3_u32 v2, 0, v2, v7
	s_waitcnt vmcnt(0) lgkmcnt(0)
	s_barrier
	v_mul_f16_sdwa v29, v24, v11 dst_sel:DWORD dst_unused:UNUSED_PAD src0_sel:DWORD src1_sel:WORD_1
	v_mul_f16_sdwa v30, v35, v11 dst_sel:DWORD dst_unused:UNUSED_PAD src0_sel:DWORD src1_sel:WORD_1
	;; [unrolled: 1-line block ×8, first 2 shown]
	v_fma_f16 v29, v35, v11, -v29
	v_fma_f16 v24, v24, v11, v30
	v_fma_f16 v30, v34, v12, -v33
	v_fma_f16 v21, v21, v12, v36
	;; [unrolled: 2-line block ×4, first 2 shown]
	v_mul_f16_sdwa v18, v23, v13 dst_sel:DWORD dst_unused:UNUSED_PAD src0_sel:DWORD src1_sel:WORD_1
	v_mul_f16_sdwa v31, v26, v13 dst_sel:DWORD dst_unused:UNUSED_PAD src0_sel:DWORD src1_sel:WORD_1
	v_mul_f16_sdwa v33, v28, v14 dst_sel:DWORD dst_unused:UNUSED_PAD src0_sel:DWORD src1_sel:WORD_1
	v_mul_f16_sdwa v34, v27, v14 dst_sel:DWORD dst_unused:UNUSED_PAD src0_sel:DWORD src1_sel:WORD_1
	v_add_f16_e32 v35, v22, v29
	v_add_f16_e32 v36, v29, v30
	v_sub_f16_e32 v37, v24, v21
	v_add_f16_e32 v38, v15, v24
	v_add_f16_e32 v24, v24, v21
	v_sub_f16_e32 v41, v11, v12
	v_add_f16_e32 v42, v16, v11
	v_add_f16_e32 v11, v11, v12
	v_fma_f16 v18, v26, v13, -v18
	v_fma_f16 v13, v23, v13, v31
	v_fma_f16 v23, v27, v14, -v33
	v_sub_f16_e32 v29, v29, v30
	v_add_f16_e32 v39, v20, v32
	v_add_f16_e32 v40, v32, v17
	v_sub_f16_e32 v32, v32, v17
	v_fma_f16 v14, v28, v14, v34
	v_add_f16_e32 v26, v35, v30
	v_fma_f16 v22, v36, -0.5, v22
	v_fma_f16 v15, v24, -0.5, v15
	;; [unrolled: 1-line block ×3, first 2 shown]
	v_add_f16_e32 v30, v18, v23
	v_fma_f16 v20, v40, -0.5, v20
	v_add_f16_e32 v24, v42, v12
	v_fma_f16 v12, v37, s0, v22
	v_fma_f16 v16, v37, s1, v22
	;; [unrolled: 1-line block ×6, first 2 shown]
	v_add_f16_e32 v11, v19, v18
	v_sub_f16_e32 v31, v13, v14
	v_add_f16_e32 v32, v25, v13
	v_fma_f16 v19, v30, -0.5, v19
	v_add_f16_e32 v13, v13, v14
	v_add_f16_e32 v17, v39, v17
	v_fma_f16 v15, v41, s0, v20
	v_add_f16_e32 v11, v11, v23
	v_fma_f16 v30, v31, s0, v19
	v_fma_f16 v19, v31, s1, v19
	v_add_f16_e32 v31, v32, v14
	v_fma_f16 v13, v13, -0.5, v25
	v_sub_f16_e32 v14, v18, v23
	v_fma_f16 v20, v41, s1, v20
	v_fma_f16 v23, v14, s1, v13
	;; [unrolled: 1-line block ×3, first 2 shown]
	ds_write_b16 v9, v26
	ds_write_b16 v9, v12 offset:198
	ds_write_b16 v9, v16 offset:396
	ds_write_b16 v9, v17 offset:594
	ds_write_b16 v9, v15 offset:792
	ds_write_b16 v9, v20 offset:990
	ds_write_b16 v2, v11 offset:1188
	ds_write_b16 v2, v30 offset:1386
	ds_write_b16 v2, v19 offset:1584
	s_waitcnt lgkmcnt(0)
	s_barrier
	ds_read_u16 v7, v8
	ds_read_u16 v11, v9 offset:198
	ds_read_u16 v14, v9 offset:792
	ds_read_u16 v15, v9 offset:1386
	ds_read_u16 v12, v9 offset:1188
	ds_read_u16 v17, v9 offset:990
	ds_read_u16 v16, v9 offset:594
	ds_read_u16 v13, v9 offset:396
	ds_read_u16 v18, v9 offset:1584
	v_add_f16_e32 v21, v38, v21
	s_waitcnt lgkmcnt(0)
	s_barrier
	ds_write_b16 v9, v21
	ds_write_b16 v9, v22 offset:198
	ds_write_b16 v9, v27 offset:396
	;; [unrolled: 1-line block ×8, first 2 shown]
	s_waitcnt lgkmcnt(0)
	s_barrier
	s_and_saveexec_b64 s[4:5], vcc
	s_cbranch_execz .LBB0_21
; %bb.20:
	v_lshlrev_b32_e32 v2, 1, v10
	v_lshlrev_b64 v[19:20], 2, v[2:3]
	v_add_u32_e32 v25, 0x63, v6
	v_lshlrev_b32_e32 v2, 1, v25
	v_mov_b32_e32 v21, s9
	v_add_co_u32_e32 v19, vcc, s8, v19
	v_lshlrev_b64 v[2:3], 2, v[2:3]
	v_addc_co_u32_e32 v20, vcc, v21, v20, vcc
	v_add_co_u32_e32 v2, vcc, s8, v2
	global_load_dwordx2 v[19:20], v[19:20], off offset:1152
	v_addc_co_u32_e32 v3, vcc, v21, v3, vcc
	global_load_dwordx2 v[21:22], v[2:3], off offset:1152
	global_load_dwordx2 v[23:24], v[4:5], off offset:1152
	ds_read_u16 v4, v9 offset:1584
	ds_read_u16 v5, v9 offset:1386
	;; [unrolled: 1-line block ×8, first 2 shown]
	ds_read_u16 v8, v8
	v_mad_u64_u32 v[2:3], s[4:5], s2, v6, 0
	s_movk_i32 s4, 0x252
	s_waitcnt vmcnt(2) lgkmcnt(5)
	v_mul_f16_sdwa v31, v27, v19 dst_sel:DWORD dst_unused:UNUSED_PAD src0_sel:DWORD src1_sel:WORD_1
	v_mul_f16_sdwa v32, v4, v20 dst_sel:DWORD dst_unused:UNUSED_PAD src0_sel:DWORD src1_sel:WORD_1
	;; [unrolled: 1-line block ×4, first 2 shown]
	v_fma_f16 v17, v17, v19, -v31
	v_fma_f16 v18, v18, v20, -v32
	v_fma_f16 v19, v19, v27, v33
	v_fma_f16 v4, v20, v4, v34
	s_waitcnt vmcnt(1) lgkmcnt(4)
	v_mul_f16_sdwa v20, v28, v21 dst_sel:DWORD dst_unused:UNUSED_PAD src0_sel:DWORD src1_sel:WORD_1
	v_mul_f16_sdwa v27, v5, v22 dst_sel:DWORD dst_unused:UNUSED_PAD src0_sel:DWORD src1_sel:WORD_1
	;; [unrolled: 1-line block ×4, first 2 shown]
	s_waitcnt vmcnt(0) lgkmcnt(3)
	v_mul_f16_sdwa v33, v29, v23 dst_sel:DWORD dst_unused:UNUSED_PAD src0_sel:DWORD src1_sel:WORD_1
	v_mul_f16_sdwa v34, v26, v24 dst_sel:DWORD dst_unused:UNUSED_PAD src0_sel:DWORD src1_sel:WORD_1
	;; [unrolled: 1-line block ×4, first 2 shown]
	v_sub_f16_e32 v37, v17, v18
	v_add_f16_e32 v38, v19, v4
	v_add_f16_e32 v39, v17, v18
	v_sub_f16_e32 v40, v19, v4
	s_waitcnt lgkmcnt(2)
	v_add_f16_e32 v19, v19, v30
	v_add_f16_e32 v17, v13, v17
	v_fma_f16 v14, v14, v21, -v20
	v_fma_f16 v15, v15, v22, -v27
	v_fma_f16 v20, v21, v28, v31
	v_fma_f16 v5, v22, v5, v32
	v_fma_f16 v16, v16, v23, -v33
	v_fma_f16 v12, v12, v24, -v34
	v_fma_f16 v21, v23, v29, v35
	v_fma_f16 v22, v24, v26, v36
	v_add_f16_e32 v19, v4, v19
	v_add_f16_e32 v17, v17, v18
	v_sub_f16_e32 v4, v14, v15
	v_add_f16_e32 v18, v20, v5
	v_add_f16_e32 v24, v14, v15
	v_sub_f16_e32 v26, v20, v5
	s_waitcnt lgkmcnt(1)
	v_add_f16_e32 v20, v20, v9
	v_add_f16_e32 v14, v11, v14
	v_add_f16_e32 v28, v21, v22
	v_add_f16_e32 v29, v16, v12
	v_fma_f16 v23, v38, -0.5, v30
	v_fma_f16 v13, v39, -0.5, v13
	v_sub_f16_e32 v27, v16, v12
	v_sub_f16_e32 v30, v21, v22
	v_fma_f16 v9, v18, -0.5, v9
	v_fma_f16 v11, v24, -0.5, v11
	v_add_f16_e32 v18, v5, v20
	v_add_f16_e32 v14, v14, v15
	s_waitcnt lgkmcnt(0)
	v_fma_f16 v5, v28, -0.5, v8
	v_fma_f16 v15, v29, -0.5, v7
	v_fma_f16 v31, v37, s0, v23
	v_fma_f16 v32, v40, s1, v13
	;; [unrolled: 1-line block ×12, first 2 shown]
	v_mad_u64_u32 v[3:4], s[0:1], s3, v6, v[3:4]
	v_add_f16_e32 v5, v21, v8
	v_add_f16_e32 v4, v7, v16
	v_add_u32_e32 v16, 0x129, v6
	v_add_f16_e32 v8, v22, v5
	v_add_f16_e32 v7, v4, v12
	v_mad_u64_u32 v[4:5], s[0:1], s2, v16, 0
	v_mov_b32_e32 v12, s13
	v_add_co_u32_e32 v21, vcc, s12, v0
	v_addc_co_u32_e32 v12, vcc, v12, v1, vcc
	v_lshlrev_b64 v[0:1], 2, v[2:3]
	v_mov_b32_e32 v2, v5
	v_mad_u64_u32 v[2:3], s[0:1], s3, v16, v[2:3]
	v_add_co_u32_e32 v0, vcc, v21, v0
	v_addc_co_u32_e32 v1, vcc, v12, v1, vcc
	v_pack_b32_f16 v3, v7, v8
	v_mov_b32_e32 v5, v2
	global_store_dword v[0:1], v3, off
	v_lshlrev_b64 v[0:1], 2, v[4:5]
	v_add_u32_e32 v4, 0x252, v6
	v_mad_u64_u32 v[2:3], s[0:1], s2, v4, 0
	v_add_co_u32_e32 v0, vcc, v21, v0
	v_mad_u64_u32 v[3:4], s[0:1], s3, v4, v[3:4]
	v_addc_co_u32_e32 v1, vcc, v12, v1, vcc
	v_pack_b32_f16 v4, v15, v27
	global_store_dword v[0:1], v4, off
	v_lshlrev_b64 v[0:1], 2, v[2:3]
	v_mad_u64_u32 v[2:3], s[0:1], s2, v25, 0
	v_add_u32_e32 v8, 0x18c, v6
	v_add_co_u32_e32 v0, vcc, v21, v0
	v_mad_u64_u32 v[3:4], s[0:1], s3, v25, v[3:4]
	v_mad_u64_u32 v[4:5], s[0:1], s2, v8, 0
	v_addc_co_u32_e32 v1, vcc, v12, v1, vcc
	v_pack_b32_f16 v7, v28, v26
	global_store_dword v[0:1], v7, off
	v_lshlrev_b64 v[0:1], 2, v[2:3]
	v_mov_b32_e32 v2, v5
	v_mad_u64_u32 v[2:3], s[0:1], s3, v8, v[2:3]
	v_add_co_u32_e32 v0, vcc, v21, v0
	v_addc_co_u32_e32 v1, vcc, v12, v1, vcc
	v_pack_b32_f16 v3, v14, v18
	v_mov_b32_e32 v5, v2
	global_store_dword v[0:1], v3, off
	v_lshlrev_b64 v[0:1], 2, v[4:5]
	v_add_u32_e32 v4, 0x2b5, v6
	v_mad_u64_u32 v[2:3], s[0:1], s2, v4, 0
	s_mov_b32 s0, 0xdca8f159
	v_mul_hi_u32 v5, v10, s0
	v_mad_u64_u32 v[3:4], s[0:1], s3, v4, v[3:4]
	v_add_co_u32_e32 v0, vcc, v21, v0
	v_lshrrev_b32_e32 v4, 8, v5
	v_mad_u32_u24 v7, v4, s4, v10
	v_mad_u64_u32 v[4:5], s[0:1], s2, v7, 0
	v_addc_co_u32_e32 v1, vcc, v12, v1, vcc
	v_pack_b32_f16 v6, v11, v9
	global_store_dword v[0:1], v6, off
	v_lshlrev_b64 v[0:1], 2, v[2:3]
	v_mov_b32_e32 v2, v5
	v_mad_u64_u32 v[2:3], s[0:1], s3, v7, v[2:3]
	v_add_co_u32_e32 v0, vcc, v21, v0
	v_addc_co_u32_e32 v1, vcc, v12, v1, vcc
	v_pack_b32_f16 v3, v24, v20
	v_mov_b32_e32 v5, v2
	global_store_dword v[0:1], v3, off
	v_lshlrev_b64 v[0:1], 2, v[4:5]
	v_add_u32_e32 v4, 0x129, v7
	v_mad_u64_u32 v[2:3], s[0:1], s2, v4, 0
	v_add_u32_e32 v7, 0x252, v7
	v_add_co_u32_e32 v0, vcc, v21, v0
	v_mad_u64_u32 v[3:4], s[0:1], s3, v4, v[3:4]
	v_mad_u64_u32 v[4:5], s[0:1], s2, v7, 0
	v_addc_co_u32_e32 v1, vcc, v12, v1, vcc
	v_pack_b32_f16 v6, v17, v19
	global_store_dword v[0:1], v6, off
	v_lshlrev_b64 v[0:1], 2, v[2:3]
	v_mov_b32_e32 v2, v5
	v_mad_u64_u32 v[2:3], s[0:1], s3, v7, v[2:3]
	v_add_co_u32_e32 v0, vcc, v21, v0
	v_addc_co_u32_e32 v1, vcc, v12, v1, vcc
	v_pack_b32_f16 v3, v13, v23
	v_mov_b32_e32 v5, v2
	global_store_dword v[0:1], v3, off
	v_lshlrev_b64 v[0:1], 2, v[4:5]
	v_pack_b32_f16 v2, v32, v31
	v_add_co_u32_e32 v0, vcc, v21, v0
	v_addc_co_u32_e32 v1, vcc, v12, v1, vcc
	global_store_dword v[0:1], v2, off
.LBB0_21:
	s_endpgm
	.section	.rodata,"a",@progbits
	.p2align	6, 0x0
	.amdhsa_kernel fft_rtc_fwd_len891_factors_9_11_3_3_wgs_198_tpt_99_halfLds_half_ip_CI_sbrr_dirReg
		.amdhsa_group_segment_fixed_size 0
		.amdhsa_private_segment_fixed_size 0
		.amdhsa_kernarg_size 88
		.amdhsa_user_sgpr_count 6
		.amdhsa_user_sgpr_private_segment_buffer 1
		.amdhsa_user_sgpr_dispatch_ptr 0
		.amdhsa_user_sgpr_queue_ptr 0
		.amdhsa_user_sgpr_kernarg_segment_ptr 1
		.amdhsa_user_sgpr_dispatch_id 0
		.amdhsa_user_sgpr_flat_scratch_init 0
		.amdhsa_user_sgpr_private_segment_size 0
		.amdhsa_uses_dynamic_stack 0
		.amdhsa_system_sgpr_private_segment_wavefront_offset 0
		.amdhsa_system_sgpr_workgroup_id_x 1
		.amdhsa_system_sgpr_workgroup_id_y 0
		.amdhsa_system_sgpr_workgroup_id_z 0
		.amdhsa_system_sgpr_workgroup_info 0
		.amdhsa_system_vgpr_workitem_id 0
		.amdhsa_next_free_vgpr 60
		.amdhsa_next_free_sgpr 24
		.amdhsa_reserve_vcc 1
		.amdhsa_reserve_flat_scratch 0
		.amdhsa_float_round_mode_32 0
		.amdhsa_float_round_mode_16_64 0
		.amdhsa_float_denorm_mode_32 3
		.amdhsa_float_denorm_mode_16_64 3
		.amdhsa_dx10_clamp 1
		.amdhsa_ieee_mode 1
		.amdhsa_fp16_overflow 0
		.amdhsa_exception_fp_ieee_invalid_op 0
		.amdhsa_exception_fp_denorm_src 0
		.amdhsa_exception_fp_ieee_div_zero 0
		.amdhsa_exception_fp_ieee_overflow 0
		.amdhsa_exception_fp_ieee_underflow 0
		.amdhsa_exception_fp_ieee_inexact 0
		.amdhsa_exception_int_div_zero 0
	.end_amdhsa_kernel
	.text
.Lfunc_end0:
	.size	fft_rtc_fwd_len891_factors_9_11_3_3_wgs_198_tpt_99_halfLds_half_ip_CI_sbrr_dirReg, .Lfunc_end0-fft_rtc_fwd_len891_factors_9_11_3_3_wgs_198_tpt_99_halfLds_half_ip_CI_sbrr_dirReg
                                        ; -- End function
	.section	.AMDGPU.csdata,"",@progbits
; Kernel info:
; codeLenInByte = 7588
; NumSgprs: 28
; NumVgprs: 60
; ScratchSize: 0
; MemoryBound: 0
; FloatMode: 240
; IeeeMode: 1
; LDSByteSize: 0 bytes/workgroup (compile time only)
; SGPRBlocks: 3
; VGPRBlocks: 14
; NumSGPRsForWavesPerEU: 28
; NumVGPRsForWavesPerEU: 60
; Occupancy: 4
; WaveLimiterHint : 1
; COMPUTE_PGM_RSRC2:SCRATCH_EN: 0
; COMPUTE_PGM_RSRC2:USER_SGPR: 6
; COMPUTE_PGM_RSRC2:TRAP_HANDLER: 0
; COMPUTE_PGM_RSRC2:TGID_X_EN: 1
; COMPUTE_PGM_RSRC2:TGID_Y_EN: 0
; COMPUTE_PGM_RSRC2:TGID_Z_EN: 0
; COMPUTE_PGM_RSRC2:TIDIG_COMP_CNT: 0
	.type	__hip_cuid_5319d3075adda32c,@object ; @__hip_cuid_5319d3075adda32c
	.section	.bss,"aw",@nobits
	.globl	__hip_cuid_5319d3075adda32c
__hip_cuid_5319d3075adda32c:
	.byte	0                               ; 0x0
	.size	__hip_cuid_5319d3075adda32c, 1

	.ident	"AMD clang version 19.0.0git (https://github.com/RadeonOpenCompute/llvm-project roc-6.4.0 25133 c7fe45cf4b819c5991fe208aaa96edf142730f1d)"
	.section	".note.GNU-stack","",@progbits
	.addrsig
	.addrsig_sym __hip_cuid_5319d3075adda32c
	.amdgpu_metadata
---
amdhsa.kernels:
  - .args:
      - .actual_access:  read_only
        .address_space:  global
        .offset:         0
        .size:           8
        .value_kind:     global_buffer
      - .offset:         8
        .size:           8
        .value_kind:     by_value
      - .actual_access:  read_only
        .address_space:  global
        .offset:         16
        .size:           8
        .value_kind:     global_buffer
      - .actual_access:  read_only
        .address_space:  global
        .offset:         24
        .size:           8
        .value_kind:     global_buffer
      - .offset:         32
        .size:           8
        .value_kind:     by_value
      - .actual_access:  read_only
        .address_space:  global
        .offset:         40
        .size:           8
        .value_kind:     global_buffer
      - .actual_access:  read_only
        .address_space:  global
        .offset:         48
        .size:           8
        .value_kind:     global_buffer
      - .offset:         56
        .size:           4
        .value_kind:     by_value
      - .actual_access:  read_only
        .address_space:  global
        .offset:         64
        .size:           8
        .value_kind:     global_buffer
      - .actual_access:  read_only
        .address_space:  global
        .offset:         72
        .size:           8
        .value_kind:     global_buffer
      - .address_space:  global
        .offset:         80
        .size:           8
        .value_kind:     global_buffer
    .group_segment_fixed_size: 0
    .kernarg_segment_align: 8
    .kernarg_segment_size: 88
    .language:       OpenCL C
    .language_version:
      - 2
      - 0
    .max_flat_workgroup_size: 198
    .name:           fft_rtc_fwd_len891_factors_9_11_3_3_wgs_198_tpt_99_halfLds_half_ip_CI_sbrr_dirReg
    .private_segment_fixed_size: 0
    .sgpr_count:     28
    .sgpr_spill_count: 0
    .symbol:         fft_rtc_fwd_len891_factors_9_11_3_3_wgs_198_tpt_99_halfLds_half_ip_CI_sbrr_dirReg.kd
    .uniform_work_group_size: 1
    .uses_dynamic_stack: false
    .vgpr_count:     60
    .vgpr_spill_count: 0
    .wavefront_size: 64
amdhsa.target:   amdgcn-amd-amdhsa--gfx906
amdhsa.version:
  - 1
  - 2
...

	.end_amdgpu_metadata
